;; amdgpu-corpus repo=ROCm/rocFFT kind=compiled arch=gfx906 opt=O3
	.text
	.amdgcn_target "amdgcn-amd-amdhsa--gfx906"
	.amdhsa_code_object_version 6
	.protected	fft_rtc_back_len800_factors_16_5_10_wgs_160_tpt_160_halfLds_sp_ip_CI_unitstride_sbrr_dirReg ; -- Begin function fft_rtc_back_len800_factors_16_5_10_wgs_160_tpt_160_halfLds_sp_ip_CI_unitstride_sbrr_dirReg
	.globl	fft_rtc_back_len800_factors_16_5_10_wgs_160_tpt_160_halfLds_sp_ip_CI_unitstride_sbrr_dirReg
	.p2align	8
	.type	fft_rtc_back_len800_factors_16_5_10_wgs_160_tpt_160_halfLds_sp_ip_CI_unitstride_sbrr_dirReg,@function
fft_rtc_back_len800_factors_16_5_10_wgs_160_tpt_160_halfLds_sp_ip_CI_unitstride_sbrr_dirReg: ; @fft_rtc_back_len800_factors_16_5_10_wgs_160_tpt_160_halfLds_sp_ip_CI_unitstride_sbrr_dirReg
; %bb.0:
	s_load_dwordx2 s[12:13], s[4:5], 0x50
	s_load_dwordx4 s[8:11], s[4:5], 0x0
	s_load_dwordx2 s[2:3], s[4:5], 0x18
	v_mul_u32_u24_e32 v1, 0x19a, v0
	v_add_u32_sdwa v5, s6, v1 dst_sel:DWORD dst_unused:UNUSED_PAD src0_sel:DWORD src1_sel:WORD_1
	v_mov_b32_e32 v3, 0
	s_waitcnt lgkmcnt(0)
	v_cmp_lt_u64_e64 s[0:1], s[10:11], 2
	v_mov_b32_e32 v1, 0
	v_mov_b32_e32 v6, v3
	s_and_b64 vcc, exec, s[0:1]
	v_mov_b32_e32 v2, 0
	s_cbranch_vccnz .LBB0_8
; %bb.1:
	s_load_dwordx2 s[0:1], s[4:5], 0x10
	s_add_u32 s6, s2, 8
	s_addc_u32 s7, s3, 0
	v_mov_b32_e32 v1, 0
	v_mov_b32_e32 v2, 0
	s_waitcnt lgkmcnt(0)
	s_add_u32 s14, s0, 8
	s_addc_u32 s15, s1, 0
	s_mov_b64 s[16:17], 1
.LBB0_2:                                ; =>This Inner Loop Header: Depth=1
	s_load_dwordx2 s[18:19], s[14:15], 0x0
                                        ; implicit-def: $vgpr7_vgpr8
	s_waitcnt lgkmcnt(0)
	v_or_b32_e32 v4, s19, v6
	v_cmp_ne_u64_e32 vcc, 0, v[3:4]
	s_and_saveexec_b64 s[0:1], vcc
	s_xor_b64 s[20:21], exec, s[0:1]
	s_cbranch_execz .LBB0_4
; %bb.3:                                ;   in Loop: Header=BB0_2 Depth=1
	v_cvt_f32_u32_e32 v4, s18
	v_cvt_f32_u32_e32 v7, s19
	s_sub_u32 s0, 0, s18
	s_subb_u32 s1, 0, s19
	v_mac_f32_e32 v4, 0x4f800000, v7
	v_rcp_f32_e32 v4, v4
	v_mul_f32_e32 v4, 0x5f7ffffc, v4
	v_mul_f32_e32 v7, 0x2f800000, v4
	v_trunc_f32_e32 v7, v7
	v_mac_f32_e32 v4, 0xcf800000, v7
	v_cvt_u32_f32_e32 v7, v7
	v_cvt_u32_f32_e32 v4, v4
	v_mul_lo_u32 v8, s0, v7
	v_mul_hi_u32 v9, s0, v4
	v_mul_lo_u32 v11, s1, v4
	v_mul_lo_u32 v10, s0, v4
	v_add_u32_e32 v8, v9, v8
	v_add_u32_e32 v8, v8, v11
	v_mul_hi_u32 v9, v4, v10
	v_mul_lo_u32 v11, v4, v8
	v_mul_hi_u32 v13, v4, v8
	v_mul_hi_u32 v12, v7, v10
	v_mul_lo_u32 v10, v7, v10
	v_mul_hi_u32 v14, v7, v8
	v_add_co_u32_e32 v9, vcc, v9, v11
	v_addc_co_u32_e32 v11, vcc, 0, v13, vcc
	v_mul_lo_u32 v8, v7, v8
	v_add_co_u32_e32 v9, vcc, v9, v10
	v_addc_co_u32_e32 v9, vcc, v11, v12, vcc
	v_addc_co_u32_e32 v10, vcc, 0, v14, vcc
	v_add_co_u32_e32 v8, vcc, v9, v8
	v_addc_co_u32_e32 v9, vcc, 0, v10, vcc
	v_add_co_u32_e32 v4, vcc, v4, v8
	v_addc_co_u32_e32 v7, vcc, v7, v9, vcc
	v_mul_lo_u32 v8, s0, v7
	v_mul_hi_u32 v9, s0, v4
	v_mul_lo_u32 v10, s1, v4
	v_mul_lo_u32 v11, s0, v4
	v_add_u32_e32 v8, v9, v8
	v_add_u32_e32 v8, v8, v10
	v_mul_lo_u32 v12, v4, v8
	v_mul_hi_u32 v13, v4, v11
	v_mul_hi_u32 v14, v4, v8
	;; [unrolled: 1-line block ×3, first 2 shown]
	v_mul_lo_u32 v11, v7, v11
	v_mul_hi_u32 v9, v7, v8
	v_add_co_u32_e32 v12, vcc, v13, v12
	v_addc_co_u32_e32 v13, vcc, 0, v14, vcc
	v_mul_lo_u32 v8, v7, v8
	v_add_co_u32_e32 v11, vcc, v12, v11
	v_addc_co_u32_e32 v10, vcc, v13, v10, vcc
	v_addc_co_u32_e32 v9, vcc, 0, v9, vcc
	v_add_co_u32_e32 v8, vcc, v10, v8
	v_addc_co_u32_e32 v9, vcc, 0, v9, vcc
	v_add_co_u32_e32 v4, vcc, v4, v8
	v_addc_co_u32_e32 v9, vcc, v7, v9, vcc
	v_mad_u64_u32 v[7:8], s[0:1], v5, v9, 0
	v_mul_hi_u32 v10, v5, v4
	v_add_co_u32_e32 v11, vcc, v10, v7
	v_addc_co_u32_e32 v12, vcc, 0, v8, vcc
	v_mad_u64_u32 v[7:8], s[0:1], v6, v4, 0
	v_mad_u64_u32 v[9:10], s[0:1], v6, v9, 0
	v_add_co_u32_e32 v4, vcc, v11, v7
	v_addc_co_u32_e32 v4, vcc, v12, v8, vcc
	v_addc_co_u32_e32 v7, vcc, 0, v10, vcc
	v_add_co_u32_e32 v4, vcc, v4, v9
	v_addc_co_u32_e32 v9, vcc, 0, v7, vcc
	v_mul_lo_u32 v10, s19, v4
	v_mul_lo_u32 v11, s18, v9
	v_mad_u64_u32 v[7:8], s[0:1], s18, v4, 0
	v_add3_u32 v8, v8, v11, v10
	v_sub_u32_e32 v10, v6, v8
	v_mov_b32_e32 v11, s19
	v_sub_co_u32_e32 v7, vcc, v5, v7
	v_subb_co_u32_e64 v10, s[0:1], v10, v11, vcc
	v_subrev_co_u32_e64 v11, s[0:1], s18, v7
	v_subbrev_co_u32_e64 v10, s[0:1], 0, v10, s[0:1]
	v_cmp_le_u32_e64 s[0:1], s19, v10
	v_cndmask_b32_e64 v12, 0, -1, s[0:1]
	v_cmp_le_u32_e64 s[0:1], s18, v11
	v_cndmask_b32_e64 v11, 0, -1, s[0:1]
	v_cmp_eq_u32_e64 s[0:1], s19, v10
	v_cndmask_b32_e64 v10, v12, v11, s[0:1]
	v_add_co_u32_e64 v11, s[0:1], 2, v4
	v_addc_co_u32_e64 v12, s[0:1], 0, v9, s[0:1]
	v_add_co_u32_e64 v13, s[0:1], 1, v4
	v_addc_co_u32_e64 v14, s[0:1], 0, v9, s[0:1]
	v_subb_co_u32_e32 v8, vcc, v6, v8, vcc
	v_cmp_ne_u32_e64 s[0:1], 0, v10
	v_cmp_le_u32_e32 vcc, s19, v8
	v_cndmask_b32_e64 v10, v14, v12, s[0:1]
	v_cndmask_b32_e64 v12, 0, -1, vcc
	v_cmp_le_u32_e32 vcc, s18, v7
	v_cndmask_b32_e64 v7, 0, -1, vcc
	v_cmp_eq_u32_e32 vcc, s19, v8
	v_cndmask_b32_e32 v7, v12, v7, vcc
	v_cmp_ne_u32_e32 vcc, 0, v7
	v_cndmask_b32_e64 v7, v13, v11, s[0:1]
	v_cndmask_b32_e32 v8, v9, v10, vcc
	v_cndmask_b32_e32 v7, v4, v7, vcc
.LBB0_4:                                ;   in Loop: Header=BB0_2 Depth=1
	s_andn2_saveexec_b64 s[0:1], s[20:21]
	s_cbranch_execz .LBB0_6
; %bb.5:                                ;   in Loop: Header=BB0_2 Depth=1
	v_cvt_f32_u32_e32 v4, s18
	s_sub_i32 s20, 0, s18
	v_rcp_iflag_f32_e32 v4, v4
	v_mul_f32_e32 v4, 0x4f7ffffe, v4
	v_cvt_u32_f32_e32 v4, v4
	v_mul_lo_u32 v7, s20, v4
	v_mul_hi_u32 v7, v4, v7
	v_add_u32_e32 v4, v4, v7
	v_mul_hi_u32 v4, v5, v4
	v_mul_lo_u32 v7, v4, s18
	v_add_u32_e32 v8, 1, v4
	v_sub_u32_e32 v7, v5, v7
	v_subrev_u32_e32 v9, s18, v7
	v_cmp_le_u32_e32 vcc, s18, v7
	v_cndmask_b32_e32 v7, v7, v9, vcc
	v_cndmask_b32_e32 v4, v4, v8, vcc
	v_add_u32_e32 v8, 1, v4
	v_cmp_le_u32_e32 vcc, s18, v7
	v_cndmask_b32_e32 v7, v4, v8, vcc
	v_mov_b32_e32 v8, v3
.LBB0_6:                                ;   in Loop: Header=BB0_2 Depth=1
	s_or_b64 exec, exec, s[0:1]
	v_mul_lo_u32 v4, v8, s18
	v_mul_lo_u32 v11, v7, s19
	v_mad_u64_u32 v[9:10], s[0:1], v7, s18, 0
	s_load_dwordx2 s[0:1], s[6:7], 0x0
	s_add_u32 s16, s16, 1
	v_add3_u32 v4, v10, v11, v4
	v_sub_co_u32_e32 v5, vcc, v5, v9
	v_subb_co_u32_e32 v4, vcc, v6, v4, vcc
	s_waitcnt lgkmcnt(0)
	v_mul_lo_u32 v4, s0, v4
	v_mul_lo_u32 v6, s1, v5
	v_mad_u64_u32 v[1:2], s[0:1], s0, v5, v[1:2]
	s_addc_u32 s17, s17, 0
	s_add_u32 s6, s6, 8
	v_add3_u32 v2, v6, v2, v4
	v_mov_b32_e32 v4, s10
	v_mov_b32_e32 v5, s11
	s_addc_u32 s7, s7, 0
	v_cmp_ge_u64_e32 vcc, s[16:17], v[4:5]
	s_add_u32 s14, s14, 8
	s_addc_u32 s15, s15, 0
	s_cbranch_vccnz .LBB0_9
; %bb.7:                                ;   in Loop: Header=BB0_2 Depth=1
	v_mov_b32_e32 v5, v7
	v_mov_b32_e32 v6, v8
	s_branch .LBB0_2
.LBB0_8:
	v_mov_b32_e32 v8, v6
	v_mov_b32_e32 v7, v5
.LBB0_9:
	s_lshl_b64 s[0:1], s[10:11], 3
	s_add_u32 s0, s2, s0
	s_addc_u32 s1, s3, s1
	s_load_dwordx2 s[2:3], s[0:1], 0x0
	s_load_dwordx2 s[6:7], s[4:5], 0x20
	v_mov_b32_e32 v16, 0
	v_mov_b32_e32 v15, 0
	;; [unrolled: 1-line block ×3, first 2 shown]
	s_waitcnt lgkmcnt(0)
	v_mad_u64_u32 v[1:2], s[0:1], s2, v7, v[1:2]
	s_mov_b32 s0, 0x199999a
	v_mul_lo_u32 v3, s2, v8
	v_mul_lo_u32 v4, s3, v7
	v_mul_hi_u32 v5, v0, s0
	v_cmp_gt_u64_e32 vcc, s[6:7], v[7:8]
	v_mov_b32_e32 v8, 0
	v_add3_u32 v2, v4, v2, v3
	v_mul_u32_u24_e32 v3, 0xa0, v5
	v_sub_u32_e32 v0, v0, v3
	v_cmp_gt_u32_e64 s[0:1], 50, v0
	v_lshlrev_b64 v[2:3], 3, v[1:2]
	s_and_b64 s[2:3], vcc, s[0:1]
	v_mov_b32_e32 v7, 0
	v_mov_b32_e32 v5, 0
	;; [unrolled: 1-line block ×12, first 2 shown]
                                        ; implicit-def: $vgpr14
                                        ; implicit-def: $vgpr24
                                        ; implicit-def: $vgpr28
                                        ; implicit-def: $vgpr26
                                        ; implicit-def: $vgpr34
                                        ; implicit-def: $vgpr30
                                        ; implicit-def: $vgpr36
                                        ; implicit-def: $vgpr32
	s_and_saveexec_b64 s[4:5], s[2:3]
	s_cbranch_execz .LBB0_11
; %bb.10:
	v_mov_b32_e32 v1, 0
	v_mov_b32_e32 v4, s13
	v_add_co_u32_e64 v6, s[2:3], s12, v2
	v_addc_co_u32_e64 v7, s[2:3], v4, v3, s[2:3]
	v_lshlrev_b64 v[4:5], 3, v[0:1]
	v_add_co_u32_e64 v37, s[2:3], v6, v4
	v_addc_co_u32_e64 v38, s[2:3], v7, v5, s[2:3]
	s_movk_i32 s2, 0x1000
	v_add_co_u32_e64 v39, s[2:3], s2, v37
	global_load_dwordx2 v[7:8], v[37:38], off
	global_load_dwordx2 v[4:5], v[37:38], off offset:400
	global_load_dwordx2 v[15:16], v[37:38], off offset:800
	;; [unrolled: 1-line block ×7, first 2 shown]
	v_addc_co_u32_e64 v40, s[2:3], 0, v38, s[2:3]
	global_load_dwordx2 v[13:14], v[37:38], off offset:3200
	global_load_dwordx2 v[23:24], v[37:38], off offset:3600
	;; [unrolled: 1-line block ×8, first 2 shown]
.LBB0_11:
	s_or_b64 exec, exec, s[4:5]
	s_waitcnt vmcnt(5)
	v_sub_f32_e32 v28, v16, v28
	v_sub_f32_e32 v23, v4, v23
	;; [unrolled: 1-line block ×3, first 2 shown]
	s_waitcnt vmcnt(2)
	v_sub_f32_e32 v29, v17, v29
	v_sub_f32_e32 v30, v18, v30
	;; [unrolled: 1-line block ×6, first 2 shown]
	v_fma_f32 v27, v16, 2.0, -v28
	s_waitcnt vmcnt(1)
	v_sub_f32_e32 v16, v21, v35
	v_fma_f32 v17, v17, 2.0, -v29
	v_fma_f32 v18, v18, 2.0, -v30
	v_sub_f32_e32 v26, v10, v26
	v_fma_f32 v35, v9, 2.0, -v25
	s_waitcnt vmcnt(0)
	v_sub_f32_e32 v9, v19, v31
	v_sub_f32_e32 v31, v20, v32
	v_add_f32_e32 v30, v23, v30
	v_sub_f32_e32 v29, v24, v29
	v_sub_f32_e32 v13, v7, v13
	v_fma_f32 v15, v15, 2.0, -v6
	v_sub_f32_e32 v34, v22, v36
	v_fma_f32 v21, v21, 2.0, -v16
	v_fma_f32 v4, v4, 2.0, -v23
	;; [unrolled: 1-line block ×5, first 2 shown]
	v_add_f32_e32 v23, v25, v31
	v_sub_f32_e32 v31, v26, v9
	v_fma_f32 v7, v7, 2.0, -v13
	v_fma_f32 v11, v11, 2.0, -v1
	v_add_f32_e32 v41, v13, v33
	v_fma_f32 v5, v5, 2.0, -v24
	v_fma_f32 v10, v10, 2.0, -v26
	;; [unrolled: 1-line block ×5, first 2 shown]
	v_mov_b32_e32 v9, v37
	v_mov_b32_e32 v19, v39
	v_sub_f32_e32 v38, v7, v11
	v_fma_f32 v11, v13, 2.0, -v41
	v_sub_f32_e32 v13, v15, v21
	v_sub_f32_e32 v16, v28, v16
	v_fma_f32 v22, v22, 2.0, -v34
	v_fmac_f32_e32 v9, 0xbf3504f3, v20
	v_fmac_f32_e32 v19, 0xbf3504f3, v24
	v_fma_f32 v7, v7, 2.0, -v38
	v_fma_f32 v15, v15, 2.0, -v13
	v_add_f32_e32 v25, v6, v34
	v_fma_f32 v26, v28, 2.0, -v16
	v_sub_f32_e32 v18, v5, v18
	v_sub_f32_e32 v28, v10, v36
	v_fmac_f32_e32 v9, 0x3f3504f3, v24
	v_fmac_f32_e32 v19, 0xbf3504f3, v20
	v_mov_b32_e32 v20, v30
	v_mov_b32_e32 v24, v29
	v_sub_f32_e32 v21, v27, v22
	v_fma_f32 v6, v6, 2.0, -v25
	v_fma_f32 v22, v5, 2.0, -v18
	v_sub_f32_e32 v5, v35, v32
	v_fma_f32 v36, v10, 2.0, -v28
	v_sub_f32_e32 v10, v7, v15
	v_mov_b32_e32 v15, v11
	v_mov_b32_e32 v44, v41
	v_fmac_f32_e32 v20, 0x3f3504f3, v23
	v_fmac_f32_e32 v24, 0x3f3504f3, v31
	v_sub_f32_e32 v17, v4, v17
	v_fma_f32 v42, v7, 2.0, -v10
	v_fmac_f32_e32 v15, 0xbf3504f3, v6
	v_fmac_f32_e32 v44, 0x3f3504f3, v25
	v_sub_f32_e32 v7, v18, v5
	v_fmac_f32_e32 v20, 0x3f3504f3, v31
	v_fmac_f32_e32 v24, 0xbf3504f3, v23
	v_fma_f32 v32, v35, 2.0, -v5
	v_mul_f32_e32 v23, 0x3f3504f3, v6
	v_fmac_f32_e32 v15, 0x3f3504f3, v26
	v_fmac_f32_e32 v44, 0x3f3504f3, v16
	v_mul_f32_e32 v35, 0x3f3504f3, v16
	v_add_f32_e32 v6, v17, v28
	v_fma_f32 v16, v18, 2.0, -v7
	v_add_f32_e32 v45, v38, v21
	v_fma_f32 v4, v4, 2.0, -v17
	v_mul_f32_e32 v34, 0x3f3504f3, v26
	v_fma_f32 v43, v11, 2.0, -v15
	v_fma_f32 v11, v17, 2.0, -v6
	;; [unrolled: 1-line block ×3, first 2 shown]
	v_mul_f32_e32 v30, 0x3f3504f3, v16
	v_mov_b32_e32 v16, v15
	v_mov_b32_e32 v17, v45
	;; [unrolled: 1-line block ×3, first 2 shown]
	v_mul_f32_e32 v31, 0x3f3504f3, v25
	v_sub_f32_e32 v25, v4, v32
	v_fma_f32 v32, v37, 2.0, -v9
	v_mov_b32_e32 v5, v43
	v_fmac_f32_e32 v16, 0x3ec3ef15, v9
	v_fmac_f32_e32 v17, 0x3f3504f3, v6
	;; [unrolled: 1-line block ×3, first 2 shown]
	v_fma_f32 v4, v4, 2.0, -v25
	v_fma_f32 v37, v39, 2.0, -v19
	v_fmac_f32_e32 v5, 0xbf6c835e, v32
	v_fmac_f32_e32 v16, 0x3f6c835e, v19
	;; [unrolled: 1-line block ×4, first 2 shown]
	v_sub_f32_e32 v36, v22, v36
	v_fma_f32 v28, v29, 2.0, -v24
	v_sub_f32_e32 v4, v42, v4
	v_fmac_f32_e32 v5, 0x3ec3ef15, v37
	v_mul_f32_e32 v29, 0x3f3504f3, v11
	v_mul_f32_e32 v39, 0x3f3504f3, v6
	;; [unrolled: 1-line block ×3, first 2 shown]
	v_fma_f32 v6, v45, 2.0, -v17
	v_fma_f32 v7, v44, 2.0, -v18
	;; [unrolled: 1-line block ×3, first 2 shown]
	s_and_saveexec_b64 s[2:3], s[0:1]
	s_cbranch_execz .LBB0_13
; %bb.12:
	v_fma_f32 v41, v41, 2.0, -v44
	v_mov_b32_e32 v46, v41
	v_fmac_f32_e32 v46, 0xbec3ef15, v26
	v_fmac_f32_e32 v46, 0x3f6c835e, v28
	v_fma_f32 v38, v38, 2.0, -v45
	v_fma_f32 v48, v41, 2.0, -v46
	v_sub_f32_e32 v41, v38, v29
	v_add_f32_e32 v45, v30, v41
	v_add_f32_e32 v15, v10, v36
	v_fma_f32 v47, v38, 2.0, -v45
	v_fma_f32 v43, v43, 2.0, -v5
	;; [unrolled: 1-line block ×3, first 2 shown]
	v_lshl_add_u32 v38, v0, 6, 0
	v_fma_f32 v10, v10, 2.0, -v15
	ds_write2_b64 v38, v[42:43], v[47:48] offset1:1
	ds_write2_b64 v38, v[10:11], v[6:7] offset0:2 offset1:3
	ds_write2_b64 v38, v[4:5], v[45:46] offset0:4 offset1:5
	;; [unrolled: 1-line block ×3, first 2 shown]
.LBB0_13:
	s_or_b64 exec, exec, s[2:3]
	v_sub_f32_e32 v10, v8, v14
	v_fma_f32 v8, v8, 2.0, -v10
	v_fma_f32 v12, v12, 2.0, -v33
	v_sub_f32_e32 v33, v8, v12
	v_sub_f32_e32 v38, v10, v1
	v_fma_f32 v8, v8, 2.0, -v33
	v_fma_f32 v1, v10, 2.0, -v38
	;; [unrolled: 1-line block ×3, first 2 shown]
	v_sub_f32_e32 v12, v8, v10
	v_fma_f32 v27, v8, 2.0, -v12
	v_sub_f32_e32 v8, v1, v34
	v_sub_f32_e32 v8, v8, v23
	v_fma_f32 v34, v1, 2.0, -v8
	v_add_f32_e32 v1, v38, v35
	v_sub_f32_e32 v41, v33, v13
	v_sub_f32_e32 v31, v1, v31
	v_fma_f32 v1, v22, 2.0, -v36
	v_sub_f32_e32 v16, v27, v1
	v_mov_b32_e32 v21, v8
	v_add_f32_e32 v1, v41, v40
	v_fmac_f32_e32 v21, 0x3ec3ef15, v19
	v_sub_f32_e32 v22, v1, v39
	v_mov_b32_e32 v23, v31
	v_lshl_add_u32 v1, v0, 2, 0
	v_fmac_f32_e32 v21, 0xbf6c835e, v9
	v_fmac_f32_e32 v23, 0x3f6c835e, v24
	v_add_u32_e32 v24, 0x400, v1
	v_fma_f32 v13, v8, 2.0, -v21
	s_waitcnt lgkmcnt(0)
	s_barrier
	ds_read2_b32 v[18:19], v1 offset1:160
	ds_read2_b32 v[8:9], v24 offset0:64 offset1:224
	ds_read_b32 v10, v1 offset:2560
	v_mov_b32_e32 v17, v34
	v_fmac_f32_e32 v17, 0xbf6c835e, v37
	v_fmac_f32_e32 v23, 0xbec3ef15, v20
	;; [unrolled: 1-line block ×3, first 2 shown]
	v_fma_f32 v14, v41, 2.0, -v22
	v_fma_f32 v15, v31, 2.0, -v23
	s_waitcnt lgkmcnt(0)
	s_barrier
	s_and_saveexec_b64 s[2:3], s[0:1]
	s_cbranch_execz .LBB0_15
; %bb.14:
	v_fma_f32 v20, v33, 2.0, -v41
	v_fma_f32 v33, v38, 2.0, -v31
	;; [unrolled: 1-line block ×3, first 2 shown]
	v_sub_f32_e32 v27, v20, v30
	v_mov_b32_e32 v30, v33
	v_fmac_f32_e32 v30, 0xbec3ef15, v28
	v_sub_f32_e32 v29, v27, v29
	v_fmac_f32_e32 v30, 0xbf6c835e, v26
	v_fma_f32 v32, v34, 2.0, -v17
	v_fma_f32 v27, v20, 2.0, -v29
	;; [unrolled: 1-line block ×3, first 2 shown]
	v_sub_f32_e32 v20, v12, v25
	v_mad_u32_u24 v25, v0, 60, v1
	v_fma_f32 v12, v12, 2.0, -v20
	ds_write2_b64 v25, v[31:32], v[27:28] offset1:1
	ds_write2_b64 v25, v[12:13], v[14:15] offset0:2 offset1:3
	ds_write2_b64 v25, v[16:17], v[29:30] offset0:4 offset1:5
	;; [unrolled: 1-line block ×3, first 2 shown]
.LBB0_15:
	s_or_b64 exec, exec, s[2:3]
	v_and_b32_e32 v12, 15, v0
	v_lshlrev_b32_e32 v20, 5, v12
	s_waitcnt lgkmcnt(0)
	s_barrier
	global_load_dwordx4 v[25:28], v20, s[8:9]
	global_load_dwordx4 v[32:35], v20, s[8:9] offset:16
	ds_read2_b32 v[21:22], v1 offset1:160
	ds_read2_b32 v[36:37], v24 offset0:64 offset1:224
	ds_read_b32 v23, v1 offset:2560
	v_lshrrev_b32_e32 v20, 4, v0
	v_mul_u32_u24_e32 v20, 0x50, v20
	v_or_b32_e32 v12, v20, v12
	v_lshl_add_u32 v24, v12, 2, 0
	s_movk_i32 s0, 0x50
	v_cmp_gt_u32_e64 s[0:1], s0, v0
	s_waitcnt vmcnt(0) lgkmcnt(0)
	s_barrier
	v_mul_f32_e32 v20, v22, v26
	v_mul_f32_e32 v29, v36, v28
	;; [unrolled: 1-line block ×7, first 2 shown]
	v_fmac_f32_e32 v20, v19, v25
	v_fmac_f32_e32 v29, v8, v27
	;; [unrolled: 1-line block ×4, first 2 shown]
	v_mul_f32_e32 v33, v10, v35
	v_fma_f32 v26, v36, v27, -v26
	v_fma_f32 v27, v37, v32, -v28
	v_add_f32_e32 v9, v29, v30
	v_add_f32_e32 v32, v20, v31
	v_fma_f32 v25, v22, v25, -v12
	v_fma_f32 v28, v23, v34, -v33
	v_add_f32_e32 v8, v18, v20
	v_sub_f32_e32 v22, v20, v29
	v_sub_f32_e32 v23, v31, v30
	v_fma_f32 v10, -0.5, v9, v18
	v_fmac_f32_e32 v18, -0.5, v32
	v_sub_f32_e32 v12, v25, v28
	v_sub_f32_e32 v19, v26, v27
	v_add_f32_e32 v23, v22, v23
	v_mov_b32_e32 v9, v10
	v_mov_b32_e32 v22, v18
	v_sub_f32_e32 v33, v29, v20
	v_sub_f32_e32 v34, v30, v31
	v_add_f32_e32 v8, v8, v29
	v_fmac_f32_e32 v10, 0x3f737871, v12
	v_fmac_f32_e32 v18, 0xbf737871, v19
	v_fmac_f32_e32 v9, 0xbf737871, v12
	v_fmac_f32_e32 v22, 0x3f737871, v19
	v_add_f32_e32 v32, v33, v34
	v_add_f32_e32 v8, v8, v30
	v_fmac_f32_e32 v10, 0x3f167918, v19
	v_fmac_f32_e32 v18, 0x3f167918, v12
	;; [unrolled: 1-line block ×4, first 2 shown]
	v_add_f32_e32 v8, v8, v31
	v_fmac_f32_e32 v10, 0x3e9e377a, v23
	v_fmac_f32_e32 v18, 0x3e9e377a, v32
	;; [unrolled: 1-line block ×4, first 2 shown]
	ds_write_b32 v24, v10 offset:256
	ds_write2_b32 v24, v8, v9 offset1:16
	ds_write2_b32 v24, v22, v18 offset0:32 offset1:48
	s_waitcnt lgkmcnt(0)
	s_barrier
	s_and_saveexec_b64 s[2:3], s[0:1]
	s_cbranch_execz .LBB0_17
; %bb.16:
	v_add_u32_e32 v4, 0x400, v1
	ds_read2_b32 v[8:9], v1 offset1:80
	ds_read2_b32 v[22:23], v1 offset0:160 offset1:240
	ds_read2_b32 v[10:11], v4 offset0:64 offset1:144
	v_add_u32_e32 v4, 0x600, v1
	ds_read2_b32 v[6:7], v4 offset0:96 offset1:176
	v_add_u32_e32 v4, 0x800, v1
	ds_read2_b32 v[4:5], v4 offset0:128 offset1:208
	s_waitcnt lgkmcnt(3)
	v_mov_b32_e32 v18, v23
.LBB0_17:
	s_or_b64 exec, exec, s[2:3]
	v_add_f32_e32 v12, v21, v25
	v_add_f32_e32 v12, v12, v26
	;; [unrolled: 1-line block ×5, first 2 shown]
	v_fma_f32 v12, -0.5, v12, v21
	v_sub_f32_e32 v31, v20, v31
	v_mov_b32_e32 v20, v12
	v_fmac_f32_e32 v20, 0x3f737871, v31
	v_sub_f32_e32 v29, v29, v30
	v_sub_f32_e32 v23, v25, v26
	;; [unrolled: 1-line block ×3, first 2 shown]
	v_fmac_f32_e32 v12, 0xbf737871, v31
	v_fmac_f32_e32 v20, 0x3f167918, v29
	v_add_f32_e32 v23, v23, v30
	v_fmac_f32_e32 v12, 0xbf167918, v29
	v_fmac_f32_e32 v20, 0x3e9e377a, v23
	;; [unrolled: 1-line block ×3, first 2 shown]
	v_add_f32_e32 v23, v25, v28
	v_fmac_f32_e32 v21, -0.5, v23
	v_mov_b32_e32 v23, v21
	v_fmac_f32_e32 v23, 0xbf737871, v29
	v_sub_f32_e32 v25, v26, v25
	v_sub_f32_e32 v26, v27, v28
	v_fmac_f32_e32 v21, 0x3f737871, v29
	v_fmac_f32_e32 v23, 0x3f167918, v31
	v_add_f32_e32 v25, v25, v26
	v_fmac_f32_e32 v21, 0xbf167918, v31
	v_fmac_f32_e32 v23, 0x3e9e377a, v25
	;; [unrolled: 1-line block ×3, first 2 shown]
	s_waitcnt lgkmcnt(0)
	s_barrier
	ds_write2_b32 v24, v19, v20 offset1:16
	ds_write2_b32 v24, v23, v21 offset0:32 offset1:48
	ds_write_b32 v24, v12 offset:256
	s_waitcnt lgkmcnt(0)
	s_barrier
	s_and_saveexec_b64 s[2:3], s[0:1]
	s_cbranch_execnz .LBB0_20
; %bb.18:
	s_or_b64 exec, exec, s[2:3]
	s_and_b64 s[0:1], vcc, s[0:1]
	s_and_saveexec_b64 s[2:3], s[0:1]
	s_cbranch_execnz .LBB0_21
.LBB0_19:
	s_endpgm
.LBB0_20:
	ds_read2_b32 v[19:20], v1 offset1:80
	ds_read2_b32 v[23:24], v1 offset0:160 offset1:240
	v_add_u32_e32 v12, 0x400, v1
	v_add_u32_e32 v14, 0x600, v1
	;; [unrolled: 1-line block ×3, first 2 shown]
	ds_read2_b32 v[12:13], v12 offset0:64 offset1:144
	ds_read2_b32 v[14:15], v14 offset0:96 offset1:176
	;; [unrolled: 1-line block ×3, first 2 shown]
	s_waitcnt lgkmcnt(3)
	v_mov_b32_e32 v21, v24
	s_or_b64 exec, exec, s[2:3]
	s_and_b64 s[0:1], vcc, s[0:1]
	s_and_saveexec_b64 s[2:3], s[0:1]
	s_cbranch_execz .LBB0_19
.LBB0_21:
	v_mul_u32_u24_e32 v1, 9, v0
	v_lshlrev_b32_e32 v1, 3, v1
	global_load_dwordx4 v[24:27], v1, s[8:9] offset:528
	global_load_dwordx4 v[28:31], v1, s[8:9] offset:512
	s_movk_i32 s0, 0x1000
	s_waitcnt vmcnt(1)
	v_mul_f32_e32 v32, v10, v27
	s_waitcnt lgkmcnt(2)
	v_mul_f32_e32 v38, v12, v27
	v_mul_f32_e32 v39, v21, v25
	;; [unrolled: 1-line block ×3, first 2 shown]
	v_fma_f32 v12, v12, v26, -v32
	v_fmac_f32_e32 v39, v18, v24
	global_load_dwordx4 v[32:35], v1, s[8:9] offset:560
	v_fmac_f32_e32 v38, v10, v26
	v_fma_f32 v10, v21, v24, -v25
	global_load_dwordx4 v[24:27], v1, s[8:9] offset:544
	global_load_dwordx2 v[36:37], v1, s[8:9] offset:576
	s_waitcnt vmcnt(3)
	v_mul_f32_e32 v1, v22, v31
	v_mul_f32_e32 v21, v23, v31
	v_fma_f32 v1, v23, v30, -v1
	v_fmac_f32_e32 v21, v22, v30
	s_waitcnt vmcnt(2)
	v_mul_f32_e32 v18, v4, v35
	s_waitcnt lgkmcnt(0)
	v_mul_f32_e32 v22, v16, v35
	v_fma_f32 v16, v16, v34, -v18
	s_waitcnt vmcnt(0)
	v_mul_f32_e32 v30, v5, v37
	v_fma_f32 v18, v17, v36, -v30
	v_mul_f32_e32 v17, v17, v37
	v_mul_f32_e32 v23, v6, v27
	;; [unrolled: 1-line block ×3, first 2 shown]
	v_fmac_f32_e32 v17, v5, v36
	v_mul_f32_e32 v30, v13, v25
	v_mul_f32_e32 v31, v15, v33
	v_fmac_f32_e32 v22, v4, v34
	v_mul_f32_e32 v4, v11, v25
	v_mul_f32_e32 v5, v7, v33
	;; [unrolled: 1-line block ×3, first 2 shown]
	v_fmac_f32_e32 v30, v11, v24
	v_mul_f32_e32 v11, v9, v29
	v_fma_f32 v14, v14, v26, -v23
	v_fmac_f32_e32 v27, v6, v26
	v_fmac_f32_e32 v31, v7, v32
	v_fma_f32 v4, v13, v24, -v4
	v_fma_f32 v6, v15, v32, -v5
	v_fmac_f32_e32 v34, v9, v28
	v_fma_f32 v9, v20, v28, -v11
	v_sub_f32_e32 v5, v1, v12
	v_sub_f32_e32 v7, v16, v14
	;; [unrolled: 1-line block ×8, first 2 shown]
	v_add_f32_e32 v36, v1, v16
	v_add_f32_e32 v11, v12, v14
	v_sub_f32_e32 v37, v30, v39
	v_sub_f32_e32 v40, v31, v17
	v_add_f32_e32 v5, v5, v7
	v_add_f32_e32 v7, v39, v17
	;; [unrolled: 1-line block ×3, first 2 shown]
	v_sub_f32_e32 v23, v4, v10
	v_add_f32_e32 v26, v26, v28
	v_sub_f32_e32 v28, v6, v18
	v_add_f32_e32 v33, v33, v35
	v_add_f32_e32 v35, v10, v18
	v_fma_f32 v36, -0.5, v36, v19
	v_sub_f32_e32 v15, v38, v27
	v_fma_f32 v41, -0.5, v11, v19
	v_add_f32_e32 v11, v37, v40
	v_fma_f32 v37, -0.5, v7, v34
	v_add_f32_e32 v7, v23, v28
	v_fma_f32 v23, -0.5, v35, v9
	v_mov_b32_e32 v35, v36
	v_sub_f32_e32 v13, v21, v22
	v_fmac_f32_e32 v36, 0xbf737871, v15
	v_fmac_f32_e32 v35, 0x3f737871, v15
	v_fmac_f32_e32 v36, 0x3f167918, v13
	v_fmac_f32_e32 v35, 0xbf167918, v13
	v_sub_f32_e32 v25, v4, v6
	v_fmac_f32_e32 v36, 0x3e9e377a, v33
	v_fmac_f32_e32 v35, 0x3e9e377a, v33
	v_mov_b32_e32 v33, v37
	v_sub_f32_e32 v24, v10, v18
	v_fmac_f32_e32 v33, 0xbf737871, v25
	v_fmac_f32_e32 v37, 0x3f737871, v25
	;; [unrolled: 1-line block ×4, first 2 shown]
	v_sub_f32_e32 v32, v30, v31
	v_fmac_f32_e32 v33, 0x3e9e377a, v11
	v_fmac_f32_e32 v37, 0x3e9e377a, v11
	v_mov_b32_e32 v11, v23
	v_sub_f32_e32 v29, v39, v17
	v_fmac_f32_e32 v11, 0x3f737871, v32
	v_fmac_f32_e32 v23, 0xbf737871, v32
	;; [unrolled: 1-line block ×4, first 2 shown]
	v_mov_b32_e32 v28, v41
	v_fmac_f32_e32 v11, 0x3e9e377a, v7
	v_fmac_f32_e32 v23, 0x3e9e377a, v7
	v_add_f32_e32 v7, v30, v31
	v_fmac_f32_e32 v28, 0xbf737871, v13
	v_fma_f32 v40, -0.5, v7, v34
	v_fmac_f32_e32 v41, 0x3f737871, v13
	v_add_f32_e32 v7, v4, v6
	v_fmac_f32_e32 v28, 0xbf167918, v15
	v_fmac_f32_e32 v41, 0x3f167918, v15
	v_fma_f32 v15, -0.5, v7, v9
	v_mov_b32_e32 v42, v15
	v_add_f32_e32 v9, v10, v9
	v_fmac_f32_e32 v42, 0xbf737871, v29
	v_fmac_f32_e32 v15, 0x3f737871, v29
	v_add_f32_e32 v4, v4, v9
	v_fmac_f32_e32 v42, 0xbf167918, v32
	v_fmac_f32_e32 v15, 0x3f167918, v32
	;; [unrolled: 3-line block ×3, first 2 shown]
	v_add_f32_e32 v19, v19, v1
	v_add_f32_e32 v26, v18, v4
	v_sub_f32_e32 v4, v21, v38
	v_sub_f32_e32 v6, v22, v27
	v_add_f32_e32 v4, v4, v6
	v_add_f32_e32 v6, v19, v12
	;; [unrolled: 1-line block ×3, first 2 shown]
	v_mov_b32_e32 v13, v40
	v_add_f32_e32 v19, v16, v6
	v_add_f32_e32 v6, v38, v27
	v_fmac_f32_e32 v13, 0x3f737871, v24
	v_fmac_f32_e32 v40, 0xbf737871, v24
	v_fma_f32 v32, -0.5, v6, v8
	v_sub_f32_e32 v6, v12, v14
	v_sub_f32_e32 v9, v38, v21
	;; [unrolled: 1-line block ×3, first 2 shown]
	v_fmac_f32_e32 v13, 0x3f167918, v25
	v_fmac_f32_e32 v40, 0xbf167918, v25
	v_add_f32_e32 v9, v9, v12
	v_add_f32_e32 v12, v21, v22
	v_fmac_f32_e32 v13, 0x3e9e377a, v20
	v_mul_f32_e32 v24, 0xbf4f1bbd, v42
	v_fmac_f32_e32 v40, 0x3e9e377a, v20
	v_mul_f32_e32 v20, 0xbe9e377a, v11
	v_mul_f32_e32 v42, 0xbf167918, v42
	v_fma_f32 v43, -0.5, v12, v8
	v_mul_f32_e32 v44, 0xbf737871, v11
	v_fmac_f32_e32 v24, 0x3f167918, v13
	v_fmac_f32_e32 v20, 0x3f737871, v33
	v_sub_f32_e32 v1, v1, v16
	v_fmac_f32_e32 v42, 0xbf4f1bbd, v13
	v_fmac_f32_e32 v44, 0xbe9e377a, v33
	v_mov_b32_e32 v33, v43
	v_add_f32_e32 v8, v8, v21
	v_add_f32_e32 v13, v39, v34
	v_fmac_f32_e32 v33, 0xbf737871, v6
	v_fmac_f32_e32 v43, 0x3f737871, v6
	v_mov_b32_e32 v45, v32
	v_fmac_f32_e32 v32, 0xbf737871, v1
	v_add_f32_e32 v8, v8, v38
	v_add_f32_e32 v13, v30, v13
	v_mul_f32_e32 v25, 0x3e9e377a, v23
	v_fmac_f32_e32 v33, 0x3f167918, v1
	v_fmac_f32_e32 v43, 0xbf167918, v1
	;; [unrolled: 1-line block ×3, first 2 shown]
	v_mul_f32_e32 v23, 0xbf737871, v23
	v_fmac_f32_e32 v32, 0xbf167918, v6
	v_mul_f32_e32 v1, 0xbf167918, v15
	v_add_f32_e32 v8, v8, v27
	v_add_f32_e32 v13, v31, v13
	v_fmac_f32_e32 v28, 0x3e9e377a, v5
	v_fmac_f32_e32 v25, 0x3f737871, v37
	;; [unrolled: 1-line block ×6, first 2 shown]
	v_add_f32_e32 v8, v22, v8
	v_add_f32_e32 v27, v17, v13
	v_fmac_f32_e32 v41, 0x3e9e377a, v5
	v_sub_f32_e32 v5, v28, v24
	v_sub_f32_e32 v7, v35, v20
	;; [unrolled: 1-line block ×3, first 2 shown]
	v_fmac_f32_e32 v33, 0x3e9e377a, v9
	v_sub_f32_e32 v14, v19, v26
	v_sub_f32_e32 v9, v43, v23
	;; [unrolled: 1-line block ×4, first 2 shown]
	v_add_f32_e32 v16, v28, v24
	v_add_f32_e32 v18, v35, v20
	;; [unrolled: 1-line block ×7, first 2 shown]
	v_mov_b32_e32 v1, 0
	v_mov_b32_e32 v8, s13
	v_add_co_u32_e32 v25, vcc, s12, v2
	v_addc_co_u32_e32 v8, vcc, v8, v3, vcc
	v_lshlrev_b64 v[2:3], 3, v[0:1]
	v_mul_f32_e32 v29, 0x3f4f1bbd, v15
	v_fmac_f32_e32 v45, 0x3f167918, v6
	v_add_co_u32_e32 v2, vcc, v25, v2
	v_fmac_f32_e32 v29, 0x3f167918, v40
	v_fmac_f32_e32 v45, 0x3e9e377a, v4
	v_addc_co_u32_e32 v3, vcc, v8, v3, vcc
	v_or_b32_e32 v0, 0x280, v0
	v_sub_f32_e32 v12, v41, v29
	v_add_f32_e32 v22, v41, v29
	v_add_f32_e32 v15, v45, v42
	;; [unrolled: 1-line block ×3, first 2 shown]
	global_store_dwordx2 v[2:3], v[23:24], off
	global_store_dwordx2 v[2:3], v[21:22], off offset:640
	global_store_dwordx2 v[2:3], v[19:20], off offset:1280
	global_store_dwordx2 v[2:3], v[17:18], off offset:1920
	global_store_dwordx2 v[2:3], v[15:16], off offset:2560
	global_store_dwordx2 v[2:3], v[13:14], off offset:3200
	global_store_dwordx2 v[2:3], v[11:12], off offset:3840
	v_add_co_u32_e32 v2, vcc, s0, v2
	v_lshlrev_b64 v[0:1], 3, v[0:1]
	v_addc_co_u32_e32 v3, vcc, 0, v3, vcc
	v_add_co_u32_e32 v0, vcc, v25, v0
	v_sub_f32_e32 v6, v33, v44
	v_addc_co_u32_e32 v1, vcc, v8, v1, vcc
	v_sub_f32_e32 v4, v45, v42
	global_store_dwordx2 v[2:3], v[9:10], off offset:384
	global_store_dwordx2 v[0:1], v[6:7], off
	global_store_dwordx2 v[2:3], v[4:5], off offset:1664
	s_endpgm
	.section	.rodata,"a",@progbits
	.p2align	6, 0x0
	.amdhsa_kernel fft_rtc_back_len800_factors_16_5_10_wgs_160_tpt_160_halfLds_sp_ip_CI_unitstride_sbrr_dirReg
		.amdhsa_group_segment_fixed_size 0
		.amdhsa_private_segment_fixed_size 0
		.amdhsa_kernarg_size 88
		.amdhsa_user_sgpr_count 6
		.amdhsa_user_sgpr_private_segment_buffer 1
		.amdhsa_user_sgpr_dispatch_ptr 0
		.amdhsa_user_sgpr_queue_ptr 0
		.amdhsa_user_sgpr_kernarg_segment_ptr 1
		.amdhsa_user_sgpr_dispatch_id 0
		.amdhsa_user_sgpr_flat_scratch_init 0
		.amdhsa_user_sgpr_private_segment_size 0
		.amdhsa_uses_dynamic_stack 0
		.amdhsa_system_sgpr_private_segment_wavefront_offset 0
		.amdhsa_system_sgpr_workgroup_id_x 1
		.amdhsa_system_sgpr_workgroup_id_y 0
		.amdhsa_system_sgpr_workgroup_id_z 0
		.amdhsa_system_sgpr_workgroup_info 0
		.amdhsa_system_vgpr_workitem_id 0
		.amdhsa_next_free_vgpr 49
		.amdhsa_next_free_sgpr 22
		.amdhsa_reserve_vcc 1
		.amdhsa_reserve_flat_scratch 0
		.amdhsa_float_round_mode_32 0
		.amdhsa_float_round_mode_16_64 0
		.amdhsa_float_denorm_mode_32 3
		.amdhsa_float_denorm_mode_16_64 3
		.amdhsa_dx10_clamp 1
		.amdhsa_ieee_mode 1
		.amdhsa_fp16_overflow 0
		.amdhsa_exception_fp_ieee_invalid_op 0
		.amdhsa_exception_fp_denorm_src 0
		.amdhsa_exception_fp_ieee_div_zero 0
		.amdhsa_exception_fp_ieee_overflow 0
		.amdhsa_exception_fp_ieee_underflow 0
		.amdhsa_exception_fp_ieee_inexact 0
		.amdhsa_exception_int_div_zero 0
	.end_amdhsa_kernel
	.text
.Lfunc_end0:
	.size	fft_rtc_back_len800_factors_16_5_10_wgs_160_tpt_160_halfLds_sp_ip_CI_unitstride_sbrr_dirReg, .Lfunc_end0-fft_rtc_back_len800_factors_16_5_10_wgs_160_tpt_160_halfLds_sp_ip_CI_unitstride_sbrr_dirReg
                                        ; -- End function
	.section	.AMDGPU.csdata,"",@progbits
; Kernel info:
; codeLenInByte = 4780
; NumSgprs: 26
; NumVgprs: 49
; ScratchSize: 0
; MemoryBound: 0
; FloatMode: 240
; IeeeMode: 1
; LDSByteSize: 0 bytes/workgroup (compile time only)
; SGPRBlocks: 3
; VGPRBlocks: 12
; NumSGPRsForWavesPerEU: 26
; NumVGPRsForWavesPerEU: 49
; Occupancy: 4
; WaveLimiterHint : 1
; COMPUTE_PGM_RSRC2:SCRATCH_EN: 0
; COMPUTE_PGM_RSRC2:USER_SGPR: 6
; COMPUTE_PGM_RSRC2:TRAP_HANDLER: 0
; COMPUTE_PGM_RSRC2:TGID_X_EN: 1
; COMPUTE_PGM_RSRC2:TGID_Y_EN: 0
; COMPUTE_PGM_RSRC2:TGID_Z_EN: 0
; COMPUTE_PGM_RSRC2:TIDIG_COMP_CNT: 0
	.type	__hip_cuid_49da6febee362f33,@object ; @__hip_cuid_49da6febee362f33
	.section	.bss,"aw",@nobits
	.globl	__hip_cuid_49da6febee362f33
__hip_cuid_49da6febee362f33:
	.byte	0                               ; 0x0
	.size	__hip_cuid_49da6febee362f33, 1

	.ident	"AMD clang version 19.0.0git (https://github.com/RadeonOpenCompute/llvm-project roc-6.4.0 25133 c7fe45cf4b819c5991fe208aaa96edf142730f1d)"
	.section	".note.GNU-stack","",@progbits
	.addrsig
	.addrsig_sym __hip_cuid_49da6febee362f33
	.amdgpu_metadata
---
amdhsa.kernels:
  - .args:
      - .actual_access:  read_only
        .address_space:  global
        .offset:         0
        .size:           8
        .value_kind:     global_buffer
      - .offset:         8
        .size:           8
        .value_kind:     by_value
      - .actual_access:  read_only
        .address_space:  global
        .offset:         16
        .size:           8
        .value_kind:     global_buffer
      - .actual_access:  read_only
        .address_space:  global
        .offset:         24
        .size:           8
        .value_kind:     global_buffer
      - .offset:         32
        .size:           8
        .value_kind:     by_value
      - .actual_access:  read_only
        .address_space:  global
        .offset:         40
        .size:           8
        .value_kind:     global_buffer
      - .actual_access:  read_only
        .address_space:  global
        .offset:         48
        .size:           8
        .value_kind:     global_buffer
      - .offset:         56
        .size:           4
        .value_kind:     by_value
      - .actual_access:  read_only
        .address_space:  global
        .offset:         64
        .size:           8
        .value_kind:     global_buffer
      - .actual_access:  read_only
        .address_space:  global
        .offset:         72
        .size:           8
        .value_kind:     global_buffer
      - .address_space:  global
        .offset:         80
        .size:           8
        .value_kind:     global_buffer
    .group_segment_fixed_size: 0
    .kernarg_segment_align: 8
    .kernarg_segment_size: 88
    .language:       OpenCL C
    .language_version:
      - 2
      - 0
    .max_flat_workgroup_size: 160
    .name:           fft_rtc_back_len800_factors_16_5_10_wgs_160_tpt_160_halfLds_sp_ip_CI_unitstride_sbrr_dirReg
    .private_segment_fixed_size: 0
    .sgpr_count:     26
    .sgpr_spill_count: 0
    .symbol:         fft_rtc_back_len800_factors_16_5_10_wgs_160_tpt_160_halfLds_sp_ip_CI_unitstride_sbrr_dirReg.kd
    .uniform_work_group_size: 1
    .uses_dynamic_stack: false
    .vgpr_count:     49
    .vgpr_spill_count: 0
    .wavefront_size: 64
amdhsa.target:   amdgcn-amd-amdhsa--gfx906
amdhsa.version:
  - 1
  - 2
...

	.end_amdgpu_metadata
